;; amdgpu-corpus repo=ggml-org/llama.cpp kind=compiled arch=gfx1100 opt=O3
	.text
	.amdgcn_target "amdgcn-amd-amdhsa--gfx1100"
	.amdhsa_code_object_version 6
	.section	.text._ZL7pad_f32PKfmmmmPfiiiiiiiiiiiib,"axG",@progbits,_ZL7pad_f32PKfmmmmPfiiiiiiiiiiiib,comdat
	.globl	_ZL7pad_f32PKfmmmmPfiiiiiiiiiiiib ; -- Begin function _ZL7pad_f32PKfmmmmPfiiiiiiiiiiiib
	.p2align	8
	.type	_ZL7pad_f32PKfmmmmPfiiiiiiiiiiiib,@function
_ZL7pad_f32PKfmmmmPfiiiiiiiiiiiib:      ; @_ZL7pad_f32PKfmmmmPfiiiiiiiiiiiib
; %bb.0:
	s_clause 0x1
	s_load_b128 s[24:27], s[0:1], 0x50
	s_load_b32 s2, s[0:1], 0x74
	s_mov_b32 s35, 0
	s_waitcnt lgkmcnt(0)
	v_cvt_f32_u32_e32 v1, s26
	s_sub_i32 s4, 0, s26
	s_and_b32 s2, s2, 0xffff
	s_delay_alu instid0(VALU_DEP_1) | instskip(SKIP_2) | instid1(VALU_DEP_1)
	v_rcp_iflag_f32_e32 v1, v1
	s_waitcnt_depctr 0xfff
	v_mul_f32_e32 v1, 0x4f7ffffe, v1
	v_cvt_u32_f32_e32 v1, v1
	s_delay_alu instid0(VALU_DEP_1) | instskip(SKIP_1) | instid1(VALU_DEP_2)
	v_readfirstlane_b32 s3, v1
	v_mad_u64_u32 v[1:2], null, s13, s2, v[0:1]
	s_mul_i32 s4, s4, s3
	s_delay_alu instid0(SALU_CYCLE_1) | instskip(NEXT) | instid1(VALU_DEP_1)
	s_mul_hi_u32 s4, s3, s4
	v_cmp_gt_i32_e32 vcc_lo, s24, v1
	s_add_i32 s3, s3, s4
	s_delay_alu instid0(SALU_CYCLE_1) | instskip(NEXT) | instid1(SALU_CYCLE_1)
	s_mul_hi_u32 s3, s15, s3
	s_mul_i32 s4, s3, s26
	s_add_i32 s5, s3, 1
	s_sub_i32 s4, s15, s4
	s_delay_alu instid0(SALU_CYCLE_1)
	s_sub_i32 s6, s4, s26
	s_cmp_ge_u32 s4, s26
	s_cselect_b32 s2, s5, s3
	s_cselect_b32 s3, s6, s4
	s_add_i32 s4, s2, 1
	s_cmp_ge_u32 s3, s26
	s_cselect_b32 s33, s4, s2
	s_delay_alu instid0(SALU_CYCLE_1) | instskip(NEXT) | instid1(SALU_CYCLE_1)
	s_mul_i32 s2, s33, s26
	s_sub_i32 s34, s15, s2
	s_cmp_lt_i32 s14, s25
	s_cselect_b32 s2, -1, 0
	s_delay_alu instid0(SALU_CYCLE_1) | instskip(SKIP_2) | instid1(SALU_CYCLE_1)
	s_and_b32 s2, s2, vcc_lo
	s_cmp_lt_i32 s34, s26
	s_cselect_b32 s3, -1, 0
	s_and_b32 s2, s3, s2
	s_cmp_lt_i32 s33, s27
	s_cselect_b32 s3, -1, 0
	s_delay_alu instid0(SALU_CYCLE_1) | instskip(NEXT) | instid1(SALU_CYCLE_1)
	s_and_b32 s2, s3, s2
	s_and_saveexec_b32 s3, s2
	s_cbranch_execz .LBB0_24
; %bb.1:
	s_clause 0x3
	s_load_b32 s2, s[0:1], 0x60
	s_load_b256 s[16:23], s[0:1], 0x30
	s_load_b256 s[4:11], s[0:1], 0x0
	s_load_b128 s[28:31], s[0:1], 0x20
	s_waitcnt lgkmcnt(0)
	s_bitcmp1_b32 s2, 0
	s_cselect_b32 s0, -1, 0
	s_delay_alu instid0(SALU_CYCLE_1)
	s_and_b32 vcc_lo, exec_lo, s0
	s_cbranch_vccnz .LBB0_5
; %bb.2:
	v_cmp_le_i32_e32 vcc_lo, s16, v1
	s_sub_i32 s0, s24, s17
	s_cmp_ge_i32 s14, s18
	v_cmp_gt_i32_e64 s0, s0, v1
	s_cselect_b32 s1, -1, 0
	s_sub_i32 s2, s25, s19
	s_and_b32 s1, vcc_lo, s1
	s_mov_b32 s36, 0
	s_and_b32 s0, s1, s0
	s_cmp_lt_i32 s14, s2
                                        ; implicit-def: $vgpr2_vgpr3
                                        ; implicit-def: $sgpr12_sgpr13
	s_cselect_b32 s1, -1, 0
	s_delay_alu instid0(SALU_CYCLE_1)
	s_and_b32 s0, s0, s1
	s_cmp_ge_i32 s34, s20
	s_cselect_b32 s1, -1, 0
	s_sub_i32 s2, s26, s21
	s_and_b32 s0, s1, s0
	s_cmp_lt_i32 s34, s2
	s_cselect_b32 s1, -1, 0
	s_delay_alu instid0(SALU_CYCLE_1)
	s_and_b32 s0, s0, s1
	s_cmp_ge_i32 s33, s22
	s_cselect_b32 s1, -1, 0
	s_sub_i32 s2, s27, s23
	s_and_b32 s0, s1, s0
	s_cmp_lt_i32 s33, s2
                                        ; implicit-def: $sgpr2_sgpr3
	s_cselect_b32 s1, -1, 0
	s_delay_alu instid0(SALU_CYCLE_1) | instskip(NEXT) | instid1(SALU_CYCLE_1)
	s_and_b32 s38, s0, s1
                                        ; implicit-def: $sgpr0_sgpr1
	s_and_saveexec_b32 s37, s38
; %bb.3:
	v_subrev_nc_u32_e32 v2, s16, v1
	s_sub_i32 s0, s14, s18
	s_sub_i32 s2, s34, s20
	s_sub_i32 s12, s33, s22
	s_mov_b32 s35, exec_lo
	v_ashrrev_i32_e32 v3, 31, v2
	s_ashr_i32 s1, s0, 31
	s_ashr_i32 s3, s2, 31
	;; [unrolled: 1-line block ×3, first 2 shown]
; %bb.4:
	s_or_b32 exec_lo, exec_lo, s37
	s_branch .LBB0_6
.LBB0_5:
	s_mov_b32 s36, -1
                                        ; implicit-def: $vgpr2_vgpr3
                                        ; implicit-def: $sgpr0_sgpr1
                                        ; implicit-def: $sgpr2_sgpr3
                                        ; implicit-def: $sgpr12_sgpr13
.LBB0_6:
	v_dual_mov_b32 v8, s12 :: v_dual_mov_b32 v9, s13
	v_dual_mov_b32 v7, s3 :: v_dual_mov_b32 v6, s2
	;; [unrolled: 1-line block ×3, first 2 shown]
	s_and_b32 vcc_lo, exec_lo, s36
	s_cbranch_vccz .LBB0_21
; %bb.7:
	v_subrev_nc_u32_e32 v0, s16, v1
	s_add_i32 s0, s17, s16
	s_delay_alu instid0(SALU_CYCLE_1) | instskip(NEXT) | instid1(SALU_CYCLE_1)
	s_sub_i32 s1, s24, s0
	s_ashr_i32 s0, s1, 31
	s_delay_alu instid0(VALU_DEP_1) | instskip(SKIP_1) | instid1(VALU_DEP_2)
	v_ashrrev_i32_e32 v2, 31, v0
	v_add_co_u32 v4, vcc_lo, v0, s1
	v_add_co_ci_u32_e32 v0, vcc_lo, s0, v2, vcc_lo
	v_mov_b32_e32 v2, 0
	s_delay_alu instid0(VALU_DEP_2) | instskip(NEXT) | instid1(VALU_DEP_1)
	v_or_b32_e32 v3, s0, v0
	v_cmp_ne_u64_e32 vcc_lo, 0, v[2:3]
                                        ; implicit-def: $vgpr2_vgpr3
	s_and_saveexec_b32 s2, vcc_lo
	s_delay_alu instid0(SALU_CYCLE_1)
	s_xor_b32 s12, exec_lo, s2
	s_cbranch_execz .LBB0_9
; %bb.8:
	s_add_u32 s16, s1, s0
	s_mov_b32 s2, s0
	s_mov_b32 s3, s0
	s_addc_u32 s17, s0, s0
	s_delay_alu instid0(SALU_CYCLE_1) | instskip(NEXT) | instid1(SALU_CYCLE_1)
	s_xor_b64 s[2:3], s[16:17], s[2:3]
	v_cvt_f32_u32_e32 v2, s2
	v_cvt_f32_u32_e32 v3, s3
	s_sub_u32 s0, 0, s2
	s_subb_u32 s13, 0, s3
	s_delay_alu instid0(VALU_DEP_1) | instskip(NEXT) | instid1(VALU_DEP_1)
	v_fmamk_f32 v2, v3, 0x4f800000, v2
	v_rcp_f32_e32 v2, v2
	s_waitcnt_depctr 0xfff
	v_mul_f32_e32 v2, 0x5f7ffffc, v2
	s_delay_alu instid0(VALU_DEP_1) | instskip(NEXT) | instid1(VALU_DEP_1)
	v_mul_f32_e32 v3, 0x2f800000, v2
	v_trunc_f32_e32 v3, v3
	s_delay_alu instid0(VALU_DEP_1) | instskip(SKIP_1) | instid1(VALU_DEP_2)
	v_fmamk_f32 v2, v3, 0xcf800000, v2
	v_cvt_u32_f32_e32 v3, v3
	v_cvt_u32_f32_e32 v2, v2
	s_delay_alu instid0(VALU_DEP_2) | instskip(NEXT) | instid1(VALU_DEP_2)
	v_mul_lo_u32 v5, s0, v3
	v_mul_hi_u32 v6, s0, v2
	v_mul_lo_u32 v7, s13, v2
	s_delay_alu instid0(VALU_DEP_2) | instskip(SKIP_1) | instid1(VALU_DEP_2)
	v_add_nc_u32_e32 v5, v6, v5
	v_mul_lo_u32 v6, s0, v2
	v_add_nc_u32_e32 v5, v5, v7
	s_delay_alu instid0(VALU_DEP_2) | instskip(NEXT) | instid1(VALU_DEP_2)
	v_mul_hi_u32 v7, v2, v6
	v_mul_lo_u32 v8, v2, v5
	v_mul_hi_u32 v9, v2, v5
	v_mul_hi_u32 v10, v3, v6
	v_mul_lo_u32 v6, v3, v6
	v_mul_hi_u32 v11, v3, v5
	v_mul_lo_u32 v5, v3, v5
	v_add_co_u32 v7, vcc_lo, v7, v8
	v_add_co_ci_u32_e32 v8, vcc_lo, 0, v9, vcc_lo
	s_delay_alu instid0(VALU_DEP_2) | instskip(NEXT) | instid1(VALU_DEP_2)
	v_add_co_u32 v6, vcc_lo, v7, v6
	v_add_co_ci_u32_e32 v6, vcc_lo, v8, v10, vcc_lo
	v_add_co_ci_u32_e32 v7, vcc_lo, 0, v11, vcc_lo
	s_delay_alu instid0(VALU_DEP_2) | instskip(NEXT) | instid1(VALU_DEP_2)
	v_add_co_u32 v5, vcc_lo, v6, v5
	v_add_co_ci_u32_e32 v6, vcc_lo, 0, v7, vcc_lo
	s_delay_alu instid0(VALU_DEP_2) | instskip(NEXT) | instid1(VALU_DEP_2)
	v_add_co_u32 v2, vcc_lo, v2, v5
	v_add_co_ci_u32_e32 v3, vcc_lo, v3, v6, vcc_lo
	s_delay_alu instid0(VALU_DEP_2) | instskip(SKIP_1) | instid1(VALU_DEP_3)
	v_mul_hi_u32 v5, s0, v2
	v_mul_lo_u32 v7, s13, v2
	v_mul_lo_u32 v6, s0, v3
	s_delay_alu instid0(VALU_DEP_1) | instskip(SKIP_1) | instid1(VALU_DEP_2)
	v_add_nc_u32_e32 v5, v5, v6
	v_mul_lo_u32 v6, s0, v2
	v_add_nc_u32_e32 v5, v5, v7
	s_delay_alu instid0(VALU_DEP_2) | instskip(NEXT) | instid1(VALU_DEP_2)
	v_mul_hi_u32 v7, v2, v6
	v_mul_lo_u32 v8, v2, v5
	v_mul_hi_u32 v9, v2, v5
	v_mul_hi_u32 v10, v3, v6
	v_mul_lo_u32 v6, v3, v6
	v_mul_hi_u32 v11, v3, v5
	v_mul_lo_u32 v5, v3, v5
	v_add_co_u32 v7, vcc_lo, v7, v8
	v_add_co_ci_u32_e32 v8, vcc_lo, 0, v9, vcc_lo
	s_delay_alu instid0(VALU_DEP_2) | instskip(NEXT) | instid1(VALU_DEP_2)
	v_add_co_u32 v6, vcc_lo, v7, v6
	v_add_co_ci_u32_e32 v6, vcc_lo, v8, v10, vcc_lo
	v_add_co_ci_u32_e32 v7, vcc_lo, 0, v11, vcc_lo
	v_add_co_u32 v4, vcc_lo, v4, v0
	v_add_co_ci_u32_e32 v8, vcc_lo, v0, v0, vcc_lo
	s_delay_alu instid0(VALU_DEP_4) | instskip(NEXT) | instid1(VALU_DEP_4)
	v_add_co_u32 v5, vcc_lo, v6, v5
	v_add_co_ci_u32_e32 v6, vcc_lo, 0, v7, vcc_lo
	s_delay_alu instid0(VALU_DEP_4) | instskip(NEXT) | instid1(VALU_DEP_3)
	v_xor_b32_e32 v9, v4, v0
	v_add_co_u32 v7, vcc_lo, v2, v5
	s_delay_alu instid0(VALU_DEP_3) | instskip(SKIP_1) | instid1(VALU_DEP_3)
	v_add_co_ci_u32_e32 v10, vcc_lo, v3, v6, vcc_lo
	v_xor_b32_e32 v8, v8, v0
	v_mul_hi_u32 v11, v9, v7
	s_delay_alu instid0(VALU_DEP_3) | instskip(NEXT) | instid1(VALU_DEP_3)
	v_mad_u64_u32 v[2:3], null, v9, v10, 0
	v_mad_u64_u32 v[4:5], null, v8, v7, 0
	;; [unrolled: 1-line block ×3, first 2 shown]
	s_delay_alu instid0(VALU_DEP_3) | instskip(NEXT) | instid1(VALU_DEP_4)
	v_add_co_u32 v2, vcc_lo, v11, v2
	v_add_co_ci_u32_e32 v3, vcc_lo, 0, v3, vcc_lo
	s_delay_alu instid0(VALU_DEP_2) | instskip(NEXT) | instid1(VALU_DEP_2)
	v_add_co_u32 v2, vcc_lo, v2, v4
	v_add_co_ci_u32_e32 v2, vcc_lo, v3, v5, vcc_lo
	v_add_co_ci_u32_e32 v3, vcc_lo, 0, v7, vcc_lo
	s_delay_alu instid0(VALU_DEP_2) | instskip(NEXT) | instid1(VALU_DEP_2)
	v_add_co_u32 v4, vcc_lo, v2, v6
	v_add_co_ci_u32_e32 v5, vcc_lo, 0, v3, vcc_lo
	s_delay_alu instid0(VALU_DEP_2) | instskip(SKIP_1) | instid1(VALU_DEP_3)
	v_mul_lo_u32 v6, s3, v4
	v_mad_u64_u32 v[2:3], null, s2, v4, 0
	v_mul_lo_u32 v4, s2, v5
	s_delay_alu instid0(VALU_DEP_2) | instskip(NEXT) | instid1(VALU_DEP_2)
	v_sub_co_u32 v2, vcc_lo, v9, v2
	v_add3_u32 v3, v3, v4, v6
	s_delay_alu instid0(VALU_DEP_1) | instskip(NEXT) | instid1(VALU_DEP_1)
	v_sub_nc_u32_e32 v4, v8, v3
	v_subrev_co_ci_u32_e64 v4, s0, s3, v4, vcc_lo
	v_sub_co_ci_u32_e32 v3, vcc_lo, v8, v3, vcc_lo
	v_sub_co_u32 v5, vcc_lo, v2, s2
	s_delay_alu instid0(VALU_DEP_1) | instskip(SKIP_3) | instid1(VALU_DEP_3)
	v_subrev_co_ci_u32_e64 v6, s0, 0, v4, vcc_lo
	v_cmp_le_u32_e64 s0, s2, v2
	v_subrev_co_ci_u32_e32 v4, vcc_lo, s3, v4, vcc_lo
	v_cmp_le_u32_e32 vcc_lo, s3, v3
	v_cndmask_b32_e64 v7, 0, -1, s0
	v_cmp_le_u32_e64 s0, s2, v5
	v_cndmask_b32_e64 v10, 0, -1, vcc_lo
	v_cmp_eq_u32_e32 vcc_lo, s3, v6
	s_delay_alu instid0(VALU_DEP_3) | instskip(SKIP_1) | instid1(VALU_DEP_1)
	v_cndmask_b32_e64 v8, 0, -1, s0
	v_cmp_le_u32_e64 s0, s3, v6
	v_cndmask_b32_e64 v9, 0, -1, s0
	v_cmp_eq_u32_e64 s0, s3, v3
	s_delay_alu instid0(VALU_DEP_2) | instskip(SKIP_2) | instid1(VALU_DEP_3)
	v_cndmask_b32_e32 v8, v9, v8, vcc_lo
	v_sub_co_u32 v9, vcc_lo, v5, s2
	v_subrev_co_ci_u32_e32 v4, vcc_lo, 0, v4, vcc_lo
	v_cmp_ne_u32_e32 vcc_lo, 0, v8
	v_cndmask_b32_e64 v7, v10, v7, s0
	s_delay_alu instid0(VALU_DEP_3) | instskip(NEXT) | instid1(VALU_DEP_2)
	v_dual_cndmask_b32 v4, v6, v4 :: v_dual_cndmask_b32 v5, v5, v9
	v_cmp_ne_u32_e32 vcc_lo, 0, v7
	s_delay_alu instid0(VALU_DEP_2) | instskip(NEXT) | instid1(VALU_DEP_1)
	v_dual_cndmask_b32 v3, v3, v4 :: v_dual_cndmask_b32 v2, v2, v5
                                        ; implicit-def: $vgpr4
	v_xor_b32_e32 v3, v3, v0
	s_delay_alu instid0(VALU_DEP_2) | instskip(NEXT) | instid1(VALU_DEP_1)
	v_xor_b32_e32 v2, v2, v0
	v_sub_co_u32 v2, vcc_lo, v2, v0
	s_delay_alu instid0(VALU_DEP_3)
	v_sub_co_ci_u32_e32 v3, vcc_lo, v3, v0, vcc_lo
.LBB0_9:
	s_and_not1_saveexec_b32 s0, s12
	s_cbranch_execz .LBB0_11
; %bb.10:
	v_cvt_f32_u32_e32 v0, s1
	s_sub_i32 s2, 0, s1
	v_mov_b32_e32 v3, 0
	s_delay_alu instid0(VALU_DEP_2) | instskip(SKIP_2) | instid1(VALU_DEP_1)
	v_rcp_iflag_f32_e32 v0, v0
	s_waitcnt_depctr 0xfff
	v_mul_f32_e32 v0, 0x4f7ffffe, v0
	v_cvt_u32_f32_e32 v0, v0
	s_delay_alu instid0(VALU_DEP_1) | instskip(NEXT) | instid1(VALU_DEP_1)
	v_mul_lo_u32 v2, s2, v0
	v_mul_hi_u32 v2, v0, v2
	s_delay_alu instid0(VALU_DEP_1) | instskip(NEXT) | instid1(VALU_DEP_1)
	v_add_nc_u32_e32 v0, v0, v2
	v_mul_hi_u32 v0, v4, v0
	s_delay_alu instid0(VALU_DEP_1) | instskip(NEXT) | instid1(VALU_DEP_1)
	v_mul_lo_u32 v0, v0, s1
	v_sub_nc_u32_e32 v0, v4, v0
	s_delay_alu instid0(VALU_DEP_1) | instskip(SKIP_1) | instid1(VALU_DEP_2)
	v_subrev_nc_u32_e32 v2, s1, v0
	v_cmp_le_u32_e32 vcc_lo, s1, v0
	v_cndmask_b32_e32 v0, v0, v2, vcc_lo
	s_delay_alu instid0(VALU_DEP_1) | instskip(SKIP_1) | instid1(VALU_DEP_2)
	v_subrev_nc_u32_e32 v2, s1, v0
	v_cmp_le_u32_e32 vcc_lo, s1, v0
	v_cndmask_b32_e32 v2, v0, v2, vcc_lo
.LBB0_11:
	s_or_b32 exec_lo, exec_lo, s0
	s_add_i32 s0, s19, s18
	s_delay_alu instid0(SALU_CYCLE_1)
	s_sub_i32 s2, s25, s0
	s_sub_i32 s0, s14, s18
	s_ashr_i32 s3, s2, 31
	s_ashr_i32 s1, s0, 31
	s_add_u32 s12, s2, s0
	s_addc_u32 s13, s3, s1
	s_delay_alu instid0(SALU_CYCLE_1) | instskip(SKIP_1) | instid1(SALU_CYCLE_1)
	s_or_b64 s[16:17], s[12:13], s[2:3]
	s_mov_b32 s16, 0
	s_cmp_lg_u64 s[16:17], 0
	s_cbranch_scc0 .LBB0_25
; %bb.12:
	s_add_u32 s18, s2, s3
	s_mov_b32 s0, s3
	s_mov_b32 s1, s3
	s_addc_u32 s19, s3, s3
	s_delay_alu instid0(SALU_CYCLE_1) | instskip(NEXT) | instid1(SALU_CYCLE_1)
	s_xor_b64 s[0:1], s[18:19], s[0:1]
	v_cvt_f32_u32_e32 v0, s0
	v_cvt_f32_u32_e32 v4, s1
	s_sub_u32 s19, 0, s0
	s_subb_u32 s35, 0, s1
	s_delay_alu instid0(VALU_DEP_1) | instskip(NEXT) | instid1(VALU_DEP_1)
	v_fmamk_f32 v0, v4, 0x4f800000, v0
	v_rcp_f32_e32 v0, v0
	s_waitcnt_depctr 0xfff
	v_mul_f32_e32 v0, 0x5f7ffffc, v0
	s_delay_alu instid0(VALU_DEP_1) | instskip(NEXT) | instid1(VALU_DEP_1)
	v_mul_f32_e32 v4, 0x2f800000, v0
	v_trunc_f32_e32 v4, v4
	s_delay_alu instid0(VALU_DEP_1) | instskip(SKIP_1) | instid1(VALU_DEP_2)
	v_fmamk_f32 v0, v4, 0xcf800000, v0
	v_cvt_u32_f32_e32 v4, v4
	v_cvt_u32_f32_e32 v0, v0
	s_delay_alu instid0(VALU_DEP_2) | instskip(NEXT) | instid1(VALU_DEP_2)
	v_readfirstlane_b32 s3, v4
	v_readfirstlane_b32 s17, v0
	s_delay_alu instid0(VALU_DEP_2) | instskip(NEXT) | instid1(VALU_DEP_1)
	s_mul_i32 s18, s19, s3
	s_mul_hi_u32 s37, s19, s17
	s_mul_i32 s36, s35, s17
	s_add_i32 s18, s37, s18
	s_mul_i32 s38, s19, s17
	s_add_i32 s18, s18, s36
	s_mul_hi_u32 s37, s17, s38
	s_mul_hi_u32 s39, s3, s38
	s_mul_i32 s36, s3, s38
	s_mul_hi_u32 s38, s17, s18
	s_mul_i32 s17, s17, s18
	s_mul_hi_u32 s40, s3, s18
	s_add_u32 s17, s37, s17
	s_addc_u32 s37, 0, s38
	s_add_u32 s17, s17, s36
	s_mul_i32 s18, s3, s18
	s_addc_u32 s17, s37, s39
	s_addc_u32 s36, s40, 0
	s_add_u32 s17, s17, s18
	s_addc_u32 s18, 0, s36
	v_add_co_u32 v0, s17, v0, s17
	s_delay_alu instid0(VALU_DEP_1) | instskip(SKIP_1) | instid1(VALU_DEP_1)
	s_cmp_lg_u32 s17, 0
	s_addc_u32 s3, s3, s18
	v_readfirstlane_b32 s17, v0
	s_mul_i32 s36, s19, s3
	s_mov_b32 s18, s13
	s_delay_alu instid0(VALU_DEP_1)
	s_mul_hi_u32 s37, s19, s17
	s_mul_i32 s35, s35, s17
	s_add_i32 s36, s37, s36
	s_mul_i32 s19, s19, s17
	s_add_i32 s36, s36, s35
	s_mul_hi_u32 s37, s3, s19
	s_mul_i32 s38, s3, s19
	s_mul_hi_u32 s19, s17, s19
	s_mul_hi_u32 s39, s17, s36
	s_mul_i32 s17, s17, s36
	s_mul_hi_u32 s35, s3, s36
	s_add_u32 s17, s19, s17
	s_addc_u32 s19, 0, s39
	s_add_u32 s17, s17, s38
	s_mul_i32 s36, s3, s36
	s_addc_u32 s17, s19, s37
	s_addc_u32 s19, s35, 0
	s_add_u32 s17, s17, s36
	s_addc_u32 s35, 0, s19
	v_add_co_u32 v0, s17, v0, s17
	s_delay_alu instid0(VALU_DEP_1)
	s_cmp_lg_u32 s17, 0
	s_mov_b32 s19, s13
	s_addc_u32 s3, s3, s35
	s_add_u32 s36, s12, s13
	v_readfirstlane_b32 s17, v0
	s_addc_u32 s37, s13, s13
	s_delay_alu instid0(SALU_CYCLE_1) | instskip(NEXT) | instid1(SALU_CYCLE_1)
	s_xor_b64 s[18:19], s[36:37], s[18:19]
	s_mul_i32 s36, s18, s3
	s_delay_alu instid0(VALU_DEP_1)
	s_mul_hi_u32 s37, s18, s17
	s_mul_hi_u32 s35, s18, s3
	;; [unrolled: 1-line block ×3, first 2 shown]
	s_mul_i32 s17, s19, s17
	s_add_u32 s36, s37, s36
	s_addc_u32 s35, 0, s35
	s_mul_hi_u32 s38, s19, s3
	s_add_u32 s17, s36, s17
	s_mul_i32 s3, s19, s3
	s_addc_u32 s17, s35, s39
	s_addc_u32 s35, s38, 0
	s_add_u32 s3, s17, s3
	s_addc_u32 s17, 0, s35
	s_mul_hi_u32 s35, s0, s3
	s_mul_i32 s17, s0, s17
	s_mul_i32 s36, s1, s3
	;; [unrolled: 1-line block ×3, first 2 shown]
	s_add_i32 s17, s35, s17
	v_sub_co_u32 v0, s3, s18, s3
	s_add_i32 s17, s17, s36
	s_delay_alu instid0(SALU_CYCLE_1) | instskip(SKIP_1) | instid1(VALU_DEP_1)
	s_sub_i32 s18, s19, s17
	s_cmp_lg_u32 s3, 0
	v_sub_co_u32 v4, s35, v0, s0
	s_subb_u32 s18, s18, s1
	s_cmp_lg_u32 s35, 0
	s_subb_u32 s36, s18, 0
	s_delay_alu instid0(VALU_DEP_1)
	v_cmp_le_u32_e32 vcc_lo, s0, v4
	s_cmp_ge_u32 s36, s1
	s_cselect_b32 s37, -1, 0
	s_cmp_eq_u32 s36, s1
	v_cndmask_b32_e64 v5, 0, -1, vcc_lo
	s_cselect_b32 vcc_lo, -1, 0
	s_cmp_lg_u32 s35, 0
	v_sub_co_u32 v6, s35, v4, s0
	s_subb_u32 s18, s18, s1
	s_cmp_lg_u32 s35, 0
	v_cndmask_b32_e32 v5, s37, v5, vcc_lo
	s_subb_u32 s18, s18, 0
	s_cmp_lg_u32 s3, 0
	v_cmp_le_u32_e32 vcc_lo, s0, v0
	s_subb_u32 s3, s19, s17
	s_delay_alu instid0(SALU_CYCLE_1)
	s_cmp_ge_u32 s3, s1
	v_cndmask_b32_e64 v7, 0, -1, vcc_lo
	s_cselect_b32 s17, -1, 0
	s_cmp_eq_u32 s3, s1
	v_cmp_ne_u32_e32 vcc_lo, 0, v5
	v_mov_b32_e32 v5, s18
	s_cselect_b32 s0, -1, 0
	s_delay_alu instid0(SALU_CYCLE_1) | instskip(SKIP_1) | instid1(VALU_DEP_3)
	v_cndmask_b32_e64 v7, s17, v7, s0
	v_cndmask_b32_e32 v4, v4, v6, vcc_lo
	v_cndmask_b32_e32 v5, s36, v5, vcc_lo
	s_delay_alu instid0(VALU_DEP_3) | instskip(NEXT) | instid1(VALU_DEP_3)
	v_cmp_ne_u32_e32 vcc_lo, 0, v7
	v_cndmask_b32_e32 v0, v0, v4, vcc_lo
	s_delay_alu instid0(VALU_DEP_3) | instskip(NEXT) | instid1(VALU_DEP_2)
	v_cndmask_b32_e32 v5, s3, v5, vcc_lo
	v_xor_b32_e32 v0, s13, v0
	s_delay_alu instid0(VALU_DEP_2) | instskip(NEXT) | instid1(VALU_DEP_2)
	v_xor_b32_e32 v5, s13, v5
	v_sub_co_u32 v4, vcc_lo, v0, s13
	s_delay_alu instid0(VALU_DEP_2)
	v_subrev_co_ci_u32_e32 v5, vcc_lo, s13, v5, vcc_lo
	s_and_not1_b32 vcc_lo, exec_lo, s16
	s_cbranch_vccnz .LBB0_14
.LBB0_13:
	v_cvt_f32_u32_e32 v0, s2
	s_sub_i32 s0, 0, s2
	v_mov_b32_e32 v5, 0
	s_delay_alu instid0(VALU_DEP_2) | instskip(SKIP_2) | instid1(VALU_DEP_1)
	v_rcp_iflag_f32_e32 v0, v0
	s_waitcnt_depctr 0xfff
	v_mul_f32_e32 v0, 0x4f7ffffe, v0
	v_cvt_u32_f32_e32 v0, v0
	s_delay_alu instid0(VALU_DEP_1) | instskip(NEXT) | instid1(VALU_DEP_1)
	v_mul_lo_u32 v4, s0, v0
	v_mul_hi_u32 v4, v0, v4
	s_delay_alu instid0(VALU_DEP_1) | instskip(NEXT) | instid1(VALU_DEP_1)
	v_add_nc_u32_e32 v0, v0, v4
	v_mul_hi_u32 v0, s12, v0
	s_delay_alu instid0(VALU_DEP_1) | instskip(NEXT) | instid1(VALU_DEP_1)
	v_mul_lo_u32 v0, v0, s2
	v_sub_nc_u32_e32 v0, s12, v0
	s_delay_alu instid0(VALU_DEP_1) | instskip(SKIP_1) | instid1(VALU_DEP_2)
	v_subrev_nc_u32_e32 v4, s2, v0
	v_cmp_le_u32_e32 vcc_lo, s2, v0
	v_cndmask_b32_e32 v0, v0, v4, vcc_lo
	s_delay_alu instid0(VALU_DEP_1) | instskip(SKIP_1) | instid1(VALU_DEP_2)
	v_subrev_nc_u32_e32 v4, s2, v0
	v_cmp_le_u32_e32 vcc_lo, s2, v0
	v_cndmask_b32_e32 v4, v0, v4, vcc_lo
.LBB0_14:
	s_add_i32 s0, s21, s20
	s_delay_alu instid0(SALU_CYCLE_1)
	s_sub_i32 s2, s26, s0
	s_sub_i32 s0, s34, s20
	s_ashr_i32 s3, s2, 31
	s_ashr_i32 s1, s0, 31
	s_add_u32 s12, s0, s2
	s_addc_u32 s13, s1, s3
	s_delay_alu instid0(SALU_CYCLE_1) | instskip(SKIP_1) | instid1(SALU_CYCLE_1)
	s_or_b64 s[16:17], s[12:13], s[2:3]
	s_mov_b32 s16, 0
	s_cmp_lg_u64 s[16:17], 0
	s_cbranch_scc0 .LBB0_26
; %bb.15:
	s_add_u32 s18, s2, s3
	s_mov_b32 s0, s3
	s_mov_b32 s1, s3
	s_addc_u32 s19, s3, s3
	s_delay_alu instid0(SALU_CYCLE_1) | instskip(NEXT) | instid1(SALU_CYCLE_1)
	s_xor_b64 s[0:1], s[18:19], s[0:1]
	v_cvt_f32_u32_e32 v0, s0
	v_cvt_f32_u32_e32 v6, s1
	s_sub_u32 s19, 0, s0
	s_subb_u32 s20, 0, s1
	s_delay_alu instid0(VALU_DEP_1) | instskip(NEXT) | instid1(VALU_DEP_1)
	v_fmamk_f32 v0, v6, 0x4f800000, v0
	v_rcp_f32_e32 v0, v0
	s_waitcnt_depctr 0xfff
	v_mul_f32_e32 v0, 0x5f7ffffc, v0
	s_delay_alu instid0(VALU_DEP_1) | instskip(NEXT) | instid1(VALU_DEP_1)
	v_mul_f32_e32 v6, 0x2f800000, v0
	v_trunc_f32_e32 v6, v6
	s_delay_alu instid0(VALU_DEP_1) | instskip(SKIP_1) | instid1(VALU_DEP_2)
	v_fmamk_f32 v0, v6, 0xcf800000, v0
	v_cvt_u32_f32_e32 v6, v6
	v_cvt_u32_f32_e32 v0, v0
	s_delay_alu instid0(VALU_DEP_2) | instskip(NEXT) | instid1(VALU_DEP_2)
	v_readfirstlane_b32 s3, v6
	v_readfirstlane_b32 s17, v0
	s_delay_alu instid0(VALU_DEP_2) | instskip(NEXT) | instid1(VALU_DEP_1)
	s_mul_i32 s18, s19, s3
	s_mul_hi_u32 s26, s19, s17
	s_mul_i32 s21, s20, s17
	s_add_i32 s18, s26, s18
	s_mul_i32 s34, s19, s17
	s_add_i32 s18, s18, s21
	s_mul_hi_u32 s26, s17, s34
	s_mul_hi_u32 s35, s3, s34
	s_mul_i32 s21, s3, s34
	s_mul_hi_u32 s34, s17, s18
	s_mul_i32 s17, s17, s18
	s_mul_hi_u32 s36, s3, s18
	s_add_u32 s17, s26, s17
	s_addc_u32 s26, 0, s34
	s_add_u32 s17, s17, s21
	s_mul_i32 s18, s3, s18
	s_addc_u32 s17, s26, s35
	s_addc_u32 s21, s36, 0
	s_add_u32 s17, s17, s18
	s_addc_u32 s18, 0, s21
	v_add_co_u32 v0, s17, v0, s17
	s_delay_alu instid0(VALU_DEP_1) | instskip(SKIP_1) | instid1(VALU_DEP_1)
	s_cmp_lg_u32 s17, 0
	s_addc_u32 s3, s3, s18
	v_readfirstlane_b32 s17, v0
	s_mul_i32 s21, s19, s3
	s_mov_b32 s18, s13
	s_delay_alu instid0(VALU_DEP_1)
	s_mul_hi_u32 s26, s19, s17
	s_mul_i32 s20, s20, s17
	s_add_i32 s21, s26, s21
	s_mul_i32 s19, s19, s17
	s_add_i32 s21, s21, s20
	s_mul_hi_u32 s26, s3, s19
	s_mul_i32 s34, s3, s19
	s_mul_hi_u32 s19, s17, s19
	s_mul_hi_u32 s35, s17, s21
	s_mul_i32 s17, s17, s21
	s_mul_hi_u32 s20, s3, s21
	s_add_u32 s17, s19, s17
	s_addc_u32 s19, 0, s35
	s_add_u32 s17, s17, s34
	s_mul_i32 s21, s3, s21
	s_addc_u32 s17, s19, s26
	s_addc_u32 s19, s20, 0
	s_add_u32 s17, s17, s21
	s_addc_u32 s20, 0, s19
	v_add_co_u32 v0, s17, v0, s17
	s_delay_alu instid0(VALU_DEP_1)
	s_cmp_lg_u32 s17, 0
	s_mov_b32 s19, s13
	s_addc_u32 s3, s3, s20
	s_add_u32 s20, s12, s13
	v_readfirstlane_b32 s17, v0
	s_addc_u32 s21, s13, s13
	s_delay_alu instid0(SALU_CYCLE_1) | instskip(NEXT) | instid1(SALU_CYCLE_1)
	s_xor_b64 s[18:19], s[20:21], s[18:19]
	s_mul_i32 s21, s18, s3
	s_delay_alu instid0(VALU_DEP_1)
	s_mul_hi_u32 s26, s18, s17
	s_mul_hi_u32 s20, s18, s3
	s_mul_hi_u32 s35, s19, s17
	s_mul_i32 s17, s19, s17
	s_add_u32 s21, s26, s21
	s_addc_u32 s20, 0, s20
	s_mul_hi_u32 s34, s19, s3
	s_add_u32 s17, s21, s17
	s_mul_i32 s3, s19, s3
	s_addc_u32 s17, s20, s35
	s_addc_u32 s20, s34, 0
	s_add_u32 s3, s17, s3
	s_addc_u32 s17, 0, s20
	s_mul_hi_u32 s20, s0, s3
	s_mul_i32 s17, s0, s17
	s_mul_i32 s21, s1, s3
	;; [unrolled: 1-line block ×3, first 2 shown]
	s_add_i32 s17, s20, s17
	v_sub_co_u32 v0, s3, s18, s3
	s_add_i32 s17, s17, s21
	s_delay_alu instid0(SALU_CYCLE_1) | instskip(SKIP_1) | instid1(VALU_DEP_1)
	s_sub_i32 s18, s19, s17
	s_cmp_lg_u32 s3, 0
	v_sub_co_u32 v6, s20, v0, s0
	s_subb_u32 s18, s18, s1
	s_cmp_lg_u32 s20, 0
	s_subb_u32 s21, s18, 0
	s_delay_alu instid0(VALU_DEP_1)
	v_cmp_le_u32_e32 vcc_lo, s0, v6
	s_cmp_ge_u32 s21, s1
	s_cselect_b32 s26, -1, 0
	s_cmp_eq_u32 s21, s1
	v_cndmask_b32_e64 v7, 0, -1, vcc_lo
	s_cselect_b32 vcc_lo, -1, 0
	s_cmp_lg_u32 s20, 0
	v_sub_co_u32 v8, s20, v6, s0
	s_subb_u32 s18, s18, s1
	s_cmp_lg_u32 s20, 0
	v_cndmask_b32_e32 v7, s26, v7, vcc_lo
	s_subb_u32 s18, s18, 0
	s_cmp_lg_u32 s3, 0
	v_cmp_le_u32_e32 vcc_lo, s0, v0
	s_subb_u32 s3, s19, s17
	s_delay_alu instid0(SALU_CYCLE_1)
	s_cmp_ge_u32 s3, s1
	v_cndmask_b32_e64 v9, 0, -1, vcc_lo
	s_cselect_b32 s17, -1, 0
	s_cmp_eq_u32 s3, s1
	v_cmp_ne_u32_e32 vcc_lo, 0, v7
	v_mov_b32_e32 v7, s18
	s_cselect_b32 s0, -1, 0
	s_delay_alu instid0(SALU_CYCLE_1) | instskip(SKIP_1) | instid1(VALU_DEP_3)
	v_cndmask_b32_e64 v9, s17, v9, s0
	v_cndmask_b32_e32 v6, v6, v8, vcc_lo
	v_cndmask_b32_e32 v7, s21, v7, vcc_lo
	s_delay_alu instid0(VALU_DEP_3) | instskip(NEXT) | instid1(VALU_DEP_3)
	v_cmp_ne_u32_e32 vcc_lo, 0, v9
	v_cndmask_b32_e32 v0, v0, v6, vcc_lo
	s_delay_alu instid0(VALU_DEP_3) | instskip(NEXT) | instid1(VALU_DEP_2)
	v_cndmask_b32_e32 v7, s3, v7, vcc_lo
	v_xor_b32_e32 v0, s13, v0
	s_delay_alu instid0(VALU_DEP_2) | instskip(NEXT) | instid1(VALU_DEP_2)
	v_xor_b32_e32 v7, s13, v7
	v_sub_co_u32 v6, vcc_lo, v0, s13
	s_delay_alu instid0(VALU_DEP_2)
	v_subrev_co_ci_u32_e32 v7, vcc_lo, s13, v7, vcc_lo
	s_and_not1_b32 vcc_lo, exec_lo, s16
	s_cbranch_vccnz .LBB0_17
.LBB0_16:
	v_cvt_f32_u32_e32 v0, s2
	s_sub_i32 s0, 0, s2
	v_mov_b32_e32 v7, 0
	s_delay_alu instid0(VALU_DEP_2) | instskip(SKIP_2) | instid1(VALU_DEP_1)
	v_rcp_iflag_f32_e32 v0, v0
	s_waitcnt_depctr 0xfff
	v_mul_f32_e32 v0, 0x4f7ffffe, v0
	v_cvt_u32_f32_e32 v0, v0
	s_delay_alu instid0(VALU_DEP_1) | instskip(NEXT) | instid1(VALU_DEP_1)
	v_mul_lo_u32 v6, s0, v0
	v_mul_hi_u32 v6, v0, v6
	s_delay_alu instid0(VALU_DEP_1) | instskip(NEXT) | instid1(VALU_DEP_1)
	v_add_nc_u32_e32 v0, v0, v6
	v_mul_hi_u32 v0, s12, v0
	s_delay_alu instid0(VALU_DEP_1) | instskip(NEXT) | instid1(VALU_DEP_1)
	v_mul_lo_u32 v0, v0, s2
	v_sub_nc_u32_e32 v0, s12, v0
	s_delay_alu instid0(VALU_DEP_1) | instskip(SKIP_1) | instid1(VALU_DEP_2)
	v_subrev_nc_u32_e32 v6, s2, v0
	v_cmp_le_u32_e32 vcc_lo, s2, v0
	v_cndmask_b32_e32 v0, v0, v6, vcc_lo
	s_delay_alu instid0(VALU_DEP_1) | instskip(SKIP_1) | instid1(VALU_DEP_2)
	v_subrev_nc_u32_e32 v6, s2, v0
	v_cmp_le_u32_e32 vcc_lo, s2, v0
	v_cndmask_b32_e32 v6, v0, v6, vcc_lo
.LBB0_17:
	s_add_i32 s0, s23, s22
	s_delay_alu instid0(SALU_CYCLE_1)
	s_sub_i32 s2, s27, s0
	s_sub_i32 s0, s33, s22
	s_ashr_i32 s3, s2, 31
	s_ashr_i32 s1, s0, 31
	s_add_u32 s12, s0, s2
	s_addc_u32 s13, s1, s3
	s_delay_alu instid0(SALU_CYCLE_1) | instskip(SKIP_1) | instid1(SALU_CYCLE_1)
	s_or_b64 s[16:17], s[12:13], s[2:3]
	s_mov_b32 s16, 0
	s_cmp_lg_u64 s[16:17], 0
	s_cbranch_scc0 .LBB0_27
; %bb.18:
	s_add_u32 s18, s2, s3
	s_mov_b32 s0, s3
	s_mov_b32 s1, s3
	s_addc_u32 s19, s3, s3
	s_delay_alu instid0(SALU_CYCLE_1) | instskip(NEXT) | instid1(SALU_CYCLE_1)
	s_xor_b64 s[0:1], s[18:19], s[0:1]
	v_cvt_f32_u32_e32 v0, s0
	v_cvt_f32_u32_e32 v8, s1
	s_sub_u32 s19, 0, s0
	s_subb_u32 s20, 0, s1
	s_delay_alu instid0(VALU_DEP_1) | instskip(NEXT) | instid1(VALU_DEP_1)
	v_fmamk_f32 v0, v8, 0x4f800000, v0
	v_rcp_f32_e32 v0, v0
	s_waitcnt_depctr 0xfff
	v_mul_f32_e32 v0, 0x5f7ffffc, v0
	s_delay_alu instid0(VALU_DEP_1) | instskip(NEXT) | instid1(VALU_DEP_1)
	v_mul_f32_e32 v8, 0x2f800000, v0
	v_trunc_f32_e32 v8, v8
	s_delay_alu instid0(VALU_DEP_1) | instskip(SKIP_1) | instid1(VALU_DEP_2)
	v_fmamk_f32 v0, v8, 0xcf800000, v0
	v_cvt_u32_f32_e32 v8, v8
	v_cvt_u32_f32_e32 v0, v0
	s_delay_alu instid0(VALU_DEP_2) | instskip(NEXT) | instid1(VALU_DEP_2)
	v_readfirstlane_b32 s3, v8
	v_readfirstlane_b32 s17, v0
	s_delay_alu instid0(VALU_DEP_2) | instskip(NEXT) | instid1(VALU_DEP_1)
	s_mul_i32 s18, s19, s3
	s_mul_hi_u32 s22, s19, s17
	s_mul_i32 s21, s20, s17
	s_add_i32 s18, s22, s18
	s_mul_i32 s23, s19, s17
	s_add_i32 s18, s18, s21
	s_mul_hi_u32 s22, s17, s23
	s_mul_hi_u32 s26, s3, s23
	s_mul_i32 s21, s3, s23
	s_mul_hi_u32 s23, s17, s18
	s_mul_i32 s17, s17, s18
	s_mul_hi_u32 s27, s3, s18
	s_add_u32 s17, s22, s17
	s_addc_u32 s22, 0, s23
	s_add_u32 s17, s17, s21
	s_mul_i32 s18, s3, s18
	s_addc_u32 s17, s22, s26
	s_addc_u32 s21, s27, 0
	s_add_u32 s17, s17, s18
	s_addc_u32 s18, 0, s21
	v_add_co_u32 v0, s17, v0, s17
	s_delay_alu instid0(VALU_DEP_1) | instskip(SKIP_1) | instid1(VALU_DEP_1)
	s_cmp_lg_u32 s17, 0
	s_addc_u32 s3, s3, s18
	v_readfirstlane_b32 s17, v0
	s_mul_i32 s21, s19, s3
	s_mov_b32 s18, s13
	s_delay_alu instid0(VALU_DEP_1)
	s_mul_hi_u32 s22, s19, s17
	s_mul_i32 s20, s20, s17
	s_add_i32 s21, s22, s21
	s_mul_i32 s19, s19, s17
	s_add_i32 s21, s21, s20
	s_mul_hi_u32 s22, s3, s19
	s_mul_i32 s23, s3, s19
	s_mul_hi_u32 s19, s17, s19
	s_mul_hi_u32 s26, s17, s21
	s_mul_i32 s17, s17, s21
	s_mul_hi_u32 s20, s3, s21
	s_add_u32 s17, s19, s17
	s_addc_u32 s19, 0, s26
	s_add_u32 s17, s17, s23
	s_mul_i32 s21, s3, s21
	s_addc_u32 s17, s19, s22
	s_addc_u32 s19, s20, 0
	s_add_u32 s17, s17, s21
	s_addc_u32 s20, 0, s19
	v_add_co_u32 v0, s17, v0, s17
	s_delay_alu instid0(VALU_DEP_1)
	s_cmp_lg_u32 s17, 0
	s_mov_b32 s19, s13
	s_addc_u32 s3, s3, s20
	s_add_u32 s20, s12, s13
	v_readfirstlane_b32 s17, v0
	s_addc_u32 s21, s13, s13
	s_delay_alu instid0(SALU_CYCLE_1) | instskip(NEXT) | instid1(SALU_CYCLE_1)
	s_xor_b64 s[18:19], s[20:21], s[18:19]
	s_mul_i32 s21, s18, s3
	s_delay_alu instid0(VALU_DEP_1)
	s_mul_hi_u32 s22, s18, s17
	s_mul_hi_u32 s20, s18, s3
	s_mul_hi_u32 s26, s19, s17
	s_mul_i32 s17, s19, s17
	s_add_u32 s21, s22, s21
	s_addc_u32 s20, 0, s20
	s_mul_hi_u32 s23, s19, s3
	s_add_u32 s17, s21, s17
	s_mul_i32 s3, s19, s3
	s_addc_u32 s17, s20, s26
	s_addc_u32 s20, s23, 0
	s_add_u32 s3, s17, s3
	s_addc_u32 s17, 0, s20
	s_mul_hi_u32 s20, s0, s3
	s_mul_i32 s17, s0, s17
	s_mul_i32 s21, s1, s3
	;; [unrolled: 1-line block ×3, first 2 shown]
	s_add_i32 s17, s20, s17
	v_sub_co_u32 v0, s3, s18, s3
	s_add_i32 s17, s17, s21
	s_delay_alu instid0(SALU_CYCLE_1) | instskip(SKIP_1) | instid1(VALU_DEP_1)
	s_sub_i32 s18, s19, s17
	s_cmp_lg_u32 s3, 0
	v_sub_co_u32 v8, s20, v0, s0
	s_subb_u32 s18, s18, s1
	s_cmp_lg_u32 s20, 0
	s_subb_u32 s21, s18, 0
	s_delay_alu instid0(VALU_DEP_1)
	v_cmp_le_u32_e32 vcc_lo, s0, v8
	s_cmp_ge_u32 s21, s1
	s_cselect_b32 s22, -1, 0
	s_cmp_eq_u32 s21, s1
	v_cndmask_b32_e64 v9, 0, -1, vcc_lo
	s_cselect_b32 vcc_lo, -1, 0
	s_cmp_lg_u32 s20, 0
	v_sub_co_u32 v10, s20, v8, s0
	s_subb_u32 s18, s18, s1
	s_cmp_lg_u32 s20, 0
	v_cndmask_b32_e32 v9, s22, v9, vcc_lo
	s_subb_u32 s18, s18, 0
	s_cmp_lg_u32 s3, 0
	v_cmp_le_u32_e32 vcc_lo, s0, v0
	s_subb_u32 s3, s19, s17
	s_delay_alu instid0(SALU_CYCLE_1)
	s_cmp_ge_u32 s3, s1
	v_cndmask_b32_e64 v11, 0, -1, vcc_lo
	s_cselect_b32 s17, -1, 0
	s_cmp_eq_u32 s3, s1
	v_cmp_ne_u32_e32 vcc_lo, 0, v9
	v_mov_b32_e32 v9, s18
	s_cselect_b32 s0, -1, 0
	s_delay_alu instid0(SALU_CYCLE_1) | instskip(SKIP_1) | instid1(VALU_DEP_3)
	v_cndmask_b32_e64 v11, s17, v11, s0
	v_cndmask_b32_e32 v8, v8, v10, vcc_lo
	v_cndmask_b32_e32 v9, s21, v9, vcc_lo
	s_delay_alu instid0(VALU_DEP_3) | instskip(NEXT) | instid1(VALU_DEP_3)
	v_cmp_ne_u32_e32 vcc_lo, 0, v11
	v_cndmask_b32_e32 v0, v0, v8, vcc_lo
	s_delay_alu instid0(VALU_DEP_3) | instskip(NEXT) | instid1(VALU_DEP_2)
	v_cndmask_b32_e32 v9, s3, v9, vcc_lo
	v_xor_b32_e32 v0, s13, v0
	s_delay_alu instid0(VALU_DEP_2) | instskip(NEXT) | instid1(VALU_DEP_2)
	v_xor_b32_e32 v9, s13, v9
	v_sub_co_u32 v8, vcc_lo, v0, s13
	s_delay_alu instid0(VALU_DEP_2)
	v_subrev_co_ci_u32_e32 v9, vcc_lo, s13, v9, vcc_lo
	s_and_not1_b32 vcc_lo, exec_lo, s16
	s_cbranch_vccnz .LBB0_20
.LBB0_19:
	v_cvt_f32_u32_e32 v0, s2
	s_sub_i32 s0, 0, s2
	v_mov_b32_e32 v9, 0
	s_delay_alu instid0(VALU_DEP_2) | instskip(SKIP_2) | instid1(VALU_DEP_1)
	v_rcp_iflag_f32_e32 v0, v0
	s_waitcnt_depctr 0xfff
	v_mul_f32_e32 v0, 0x4f7ffffe, v0
	v_cvt_u32_f32_e32 v0, v0
	s_delay_alu instid0(VALU_DEP_1) | instskip(NEXT) | instid1(VALU_DEP_1)
	v_mul_lo_u32 v8, s0, v0
	v_mul_hi_u32 v8, v0, v8
	s_delay_alu instid0(VALU_DEP_1) | instskip(NEXT) | instid1(VALU_DEP_1)
	v_add_nc_u32_e32 v0, v0, v8
	v_mul_hi_u32 v0, s12, v0
	s_delay_alu instid0(VALU_DEP_1) | instskip(NEXT) | instid1(VALU_DEP_1)
	v_mul_lo_u32 v0, v0, s2
	v_sub_nc_u32_e32 v0, s12, v0
	s_delay_alu instid0(VALU_DEP_1) | instskip(SKIP_1) | instid1(VALU_DEP_2)
	v_subrev_nc_u32_e32 v8, s2, v0
	v_cmp_le_u32_e32 vcc_lo, s2, v0
	v_cndmask_b32_e32 v0, v0, v8, vcc_lo
	s_delay_alu instid0(VALU_DEP_1) | instskip(SKIP_1) | instid1(VALU_DEP_2)
	v_subrev_nc_u32_e32 v8, s2, v0
	v_cmp_le_u32_e32 vcc_lo, s2, v0
	v_cndmask_b32_e32 v8, v0, v8, vcc_lo
.LBB0_20:
	s_mov_b32 s35, -1
                                        ; implicit-def: $sgpr36
.LBB0_21:
	v_mov_b32_e32 v0, s36
	s_and_saveexec_b32 s0, s35
	s_cbranch_execz .LBB0_23
; %bb.22:
	v_mul_lo_u32 v0, v8, s29
	v_mul_hi_u32 v10, v8, s28
	v_mul_lo_u32 v9, v9, s28
	v_mul_lo_u32 v11, v6, s11
	v_mul_hi_u32 v12, v6, s10
	v_mul_lo_u32 v8, v8, s28
	v_mul_lo_u32 v7, v7, s10
	;; [unrolled: 1-line block ×3, first 2 shown]
	v_mul_hi_u32 v14, v4, s8
	v_add_nc_u32_e32 v0, v10, v0
	v_mul_lo_u32 v16, v3, s6
	v_mul_lo_u32 v15, v5, s8
	v_add_nc_u32_e32 v3, v12, v11
	v_mad_u64_u32 v[10:11], null, v2, s6, 0
	v_add_nc_u32_e32 v9, v0, v9
	v_mul_lo_u32 v0, v2, s7
	v_mul_lo_u32 v2, v6, s10
	v_add_nc_u32_e32 v12, v14, v13
	v_add_nc_u32_e32 v3, v3, v7
	v_lshlrev_b64 v[5:6], 2, v[8:9]
	v_mul_lo_u32 v7, v4, s8
	s_delay_alu instid0(VALU_DEP_4)
	v_add_nc_u32_e32 v8, v12, v15
	v_add3_u32 v11, v11, v0, v16
	v_lshlrev_b64 v[2:3], 2, v[2:3]
	v_add_co_u32 v0, vcc_lo, s4, v5
	v_add_co_ci_u32_e32 v6, vcc_lo, s5, v6, vcc_lo
	v_lshlrev_b64 v[4:5], 2, v[7:8]
	s_delay_alu instid0(VALU_DEP_3) | instskip(NEXT) | instid1(VALU_DEP_3)
	v_add_co_u32 v0, vcc_lo, v0, v2
	v_add_co_ci_u32_e32 v6, vcc_lo, v6, v3, vcc_lo
	v_lshlrev_b64 v[2:3], 2, v[10:11]
	s_delay_alu instid0(VALU_DEP_3) | instskip(NEXT) | instid1(VALU_DEP_3)
	v_add_co_u32 v0, vcc_lo, v0, v4
	v_add_co_ci_u32_e32 v4, vcc_lo, v6, v5, vcc_lo
	s_delay_alu instid0(VALU_DEP_2) | instskip(NEXT) | instid1(VALU_DEP_2)
	v_add_co_u32 v2, vcc_lo, v0, v2
	v_add_co_ci_u32_e32 v3, vcc_lo, v4, v3, vcc_lo
	global_load_b32 v0, v[2:3], off
.LBB0_23:
	s_or_b32 exec_lo, exec_lo, s0
	s_mul_i32 s0, s15, s25
	s_delay_alu instid0(SALU_CYCLE_1) | instskip(NEXT) | instid1(SALU_CYCLE_1)
	s_add_i32 s0, s0, s14
	v_mad_u64_u32 v[2:3], null, s0, s24, v[1:2]
	s_delay_alu instid0(VALU_DEP_1) | instskip(NEXT) | instid1(VALU_DEP_1)
	v_ashrrev_i32_e32 v3, 31, v2
	v_lshlrev_b64 v[1:2], 2, v[2:3]
	s_delay_alu instid0(VALU_DEP_1) | instskip(NEXT) | instid1(VALU_DEP_2)
	v_add_co_u32 v1, vcc_lo, s30, v1
	v_add_co_ci_u32_e32 v2, vcc_lo, s31, v2, vcc_lo
	s_waitcnt vmcnt(0)
	global_store_b32 v[1:2], v0, off
.LBB0_24:
	s_nop 0
	s_sendmsg sendmsg(MSG_DEALLOC_VGPRS)
	s_endpgm
.LBB0_25:
                                        ; implicit-def: $vgpr4_vgpr5
	s_branch .LBB0_13
.LBB0_26:
                                        ; implicit-def: $vgpr6_vgpr7
	s_branch .LBB0_16
.LBB0_27:
                                        ; implicit-def: $vgpr8_vgpr9
	s_branch .LBB0_19
	.section	.rodata,"a",@progbits
	.p2align	6, 0x0
	.amdhsa_kernel _ZL7pad_f32PKfmmmmPfiiiiiiiiiiiib
		.amdhsa_group_segment_fixed_size 0
		.amdhsa_private_segment_fixed_size 0
		.amdhsa_kernarg_size 360
		.amdhsa_user_sgpr_count 13
		.amdhsa_user_sgpr_dispatch_ptr 0
		.amdhsa_user_sgpr_queue_ptr 0
		.amdhsa_user_sgpr_kernarg_segment_ptr 1
		.amdhsa_user_sgpr_dispatch_id 0
		.amdhsa_user_sgpr_private_segment_size 0
		.amdhsa_wavefront_size32 1
		.amdhsa_uses_dynamic_stack 0
		.amdhsa_enable_private_segment 0
		.amdhsa_system_sgpr_workgroup_id_x 1
		.amdhsa_system_sgpr_workgroup_id_y 1
		.amdhsa_system_sgpr_workgroup_id_z 1
		.amdhsa_system_sgpr_workgroup_info 0
		.amdhsa_system_vgpr_workitem_id 0
		.amdhsa_next_free_vgpr 17
		.amdhsa_next_free_sgpr 41
		.amdhsa_reserve_vcc 1
		.amdhsa_float_round_mode_32 0
		.amdhsa_float_round_mode_16_64 0
		.amdhsa_float_denorm_mode_32 3
		.amdhsa_float_denorm_mode_16_64 3
		.amdhsa_dx10_clamp 1
		.amdhsa_ieee_mode 1
		.amdhsa_fp16_overflow 0
		.amdhsa_workgroup_processor_mode 1
		.amdhsa_memory_ordered 1
		.amdhsa_forward_progress 0
		.amdhsa_shared_vgpr_count 0
		.amdhsa_exception_fp_ieee_invalid_op 0
		.amdhsa_exception_fp_denorm_src 0
		.amdhsa_exception_fp_ieee_div_zero 0
		.amdhsa_exception_fp_ieee_overflow 0
		.amdhsa_exception_fp_ieee_underflow 0
		.amdhsa_exception_fp_ieee_inexact 0
		.amdhsa_exception_int_div_zero 0
	.end_amdhsa_kernel
	.section	.text._ZL7pad_f32PKfmmmmPfiiiiiiiiiiiib,"axG",@progbits,_ZL7pad_f32PKfmmmmPfiiiiiiiiiiiib,comdat
.Lfunc_end0:
	.size	_ZL7pad_f32PKfmmmmPfiiiiiiiiiiiib, .Lfunc_end0-_ZL7pad_f32PKfmmmmPfiiiiiiiiiiiib
                                        ; -- End function
	.section	.AMDGPU.csdata,"",@progbits
; Kernel info:
; codeLenInByte = 4376
; NumSgprs: 43
; NumVgprs: 17
; ScratchSize: 0
; MemoryBound: 0
; FloatMode: 240
; IeeeMode: 1
; LDSByteSize: 0 bytes/workgroup (compile time only)
; SGPRBlocks: 5
; VGPRBlocks: 2
; NumSGPRsForWavesPerEU: 43
; NumVGPRsForWavesPerEU: 17
; Occupancy: 16
; WaveLimiterHint : 0
; COMPUTE_PGM_RSRC2:SCRATCH_EN: 0
; COMPUTE_PGM_RSRC2:USER_SGPR: 13
; COMPUTE_PGM_RSRC2:TRAP_HANDLER: 0
; COMPUTE_PGM_RSRC2:TGID_X_EN: 1
; COMPUTE_PGM_RSRC2:TGID_Y_EN: 1
; COMPUTE_PGM_RSRC2:TGID_Z_EN: 1
; COMPUTE_PGM_RSRC2:TIDIG_COMP_CNT: 0
	.text
	.p2alignl 7, 3214868480
	.fill 96, 4, 3214868480
	.type	__hip_cuid_fdd719790f418585,@object ; @__hip_cuid_fdd719790f418585
	.section	.bss,"aw",@nobits
	.globl	__hip_cuid_fdd719790f418585
__hip_cuid_fdd719790f418585:
	.byte	0                               ; 0x0
	.size	__hip_cuid_fdd719790f418585, 1

	.ident	"AMD clang version 19.0.0git (https://github.com/RadeonOpenCompute/llvm-project roc-6.4.0 25133 c7fe45cf4b819c5991fe208aaa96edf142730f1d)"
	.section	".note.GNU-stack","",@progbits
	.addrsig
	.addrsig_sym __hip_cuid_fdd719790f418585
	.amdgpu_metadata
---
amdhsa.kernels:
  - .args:
      - .address_space:  global
        .offset:         0
        .size:           8
        .value_kind:     global_buffer
      - .offset:         8
        .size:           8
        .value_kind:     by_value
      - .offset:         16
        .size:           8
        .value_kind:     by_value
      - .offset:         24
        .size:           8
        .value_kind:     by_value
      - .offset:         32
        .size:           8
        .value_kind:     by_value
      - .address_space:  global
        .offset:         40
        .size:           8
        .value_kind:     global_buffer
      - .offset:         48
        .size:           4
        .value_kind:     by_value
      - .offset:         52
        .size:           4
        .value_kind:     by_value
      - .offset:         56
        .size:           4
        .value_kind:     by_value
      - .offset:         60
        .size:           4
        .value_kind:     by_value
      - .offset:         64
        .size:           4
        .value_kind:     by_value
      - .offset:         68
        .size:           4
        .value_kind:     by_value
      - .offset:         72
        .size:           4
        .value_kind:     by_value
      - .offset:         76
        .size:           4
        .value_kind:     by_value
      - .offset:         80
        .size:           4
        .value_kind:     by_value
      - .offset:         84
        .size:           4
        .value_kind:     by_value
      - .offset:         88
        .size:           4
        .value_kind:     by_value
      - .offset:         92
        .size:           4
        .value_kind:     by_value
      - .offset:         96
        .size:           1
        .value_kind:     by_value
      - .offset:         104
        .size:           4
        .value_kind:     hidden_block_count_x
      - .offset:         108
        .size:           4
        .value_kind:     hidden_block_count_y
      - .offset:         112
        .size:           4
        .value_kind:     hidden_block_count_z
      - .offset:         116
        .size:           2
        .value_kind:     hidden_group_size_x
      - .offset:         118
        .size:           2
        .value_kind:     hidden_group_size_y
      - .offset:         120
        .size:           2
        .value_kind:     hidden_group_size_z
      - .offset:         122
        .size:           2
        .value_kind:     hidden_remainder_x
      - .offset:         124
        .size:           2
        .value_kind:     hidden_remainder_y
      - .offset:         126
        .size:           2
        .value_kind:     hidden_remainder_z
      - .offset:         144
        .size:           8
        .value_kind:     hidden_global_offset_x
      - .offset:         152
        .size:           8
        .value_kind:     hidden_global_offset_y
      - .offset:         160
        .size:           8
        .value_kind:     hidden_global_offset_z
      - .offset:         168
        .size:           2
        .value_kind:     hidden_grid_dims
    .group_segment_fixed_size: 0
    .kernarg_segment_align: 8
    .kernarg_segment_size: 360
    .language:       OpenCL C
    .language_version:
      - 2
      - 0
    .max_flat_workgroup_size: 1024
    .name:           _ZL7pad_f32PKfmmmmPfiiiiiiiiiiiib
    .private_segment_fixed_size: 0
    .sgpr_count:     43
    .sgpr_spill_count: 0
    .symbol:         _ZL7pad_f32PKfmmmmPfiiiiiiiiiiiib.kd
    .uniform_work_group_size: 1
    .uses_dynamic_stack: false
    .vgpr_count:     17
    .vgpr_spill_count: 0
    .wavefront_size: 32
    .workgroup_processor_mode: 1
amdhsa.target:   amdgcn-amd-amdhsa--gfx1100
amdhsa.version:
  - 1
  - 2
...

	.end_amdgpu_metadata
